;; amdgpu-corpus repo=ROCm/rocm-examples kind=compiled arch=gfx1250 opt=O3
	.amdgcn_target "amdgcn-amd-amdhsa--gfx1250"
	.amdhsa_code_object_version 6
	.text
	.protected	_Z23matrix_transpose_kernelPfPKfj ; -- Begin function _Z23matrix_transpose_kernelPfPKfj
	.globl	_Z23matrix_transpose_kernelPfPKfj
	.p2align	8
	.type	_Z23matrix_transpose_kernelPfPKfj,@function
_Z23matrix_transpose_kernelPfPKfj:      ; @_Z23matrix_transpose_kernelPfPKfj
; %bb.0:
	s_load_b32 s2, s[0:1], 0x10
	v_and_b32_e32 v1, 0x3ff, v0
	v_bfe_u32 v0, v0, 10, 10
	s_mov_b32 s3, exec_lo
	s_delay_alu instid0(VALU_DEP_1) | instskip(SKIP_1) | instid1(VALU_DEP_1)
	v_max_u32_e32 v2, v1, v0
	s_wait_kmcnt 0x0
	v_cmpx_gt_u32_e64 s2, v2
	s_cbranch_execz .LBB0_2
; %bb.1:
	s_load_b128 s[4:7], s[0:1], 0x0
	v_mad_u32 v2, s2, v0, v1
	v_mad_u32 v0, s2, v1, v0
	s_wait_kmcnt 0x0
	global_load_b32 v3, v2, s[6:7] scale_offset
	s_wait_xcnt 0x0
	v_and_b32_e32 v2, 31, v2
	s_delay_alu instid0(VALU_DEP_1)
	v_lshlrev_b32_e32 v2, 2, v2
	s_wait_loadcnt 0x0
	ds_bpermute_b32 v2, v2, v3
	s_wait_dscnt 0x0
	global_store_b32 v0, v2, s[4:5] scale_offset
.LBB0_2:
	s_endpgm
	.section	.rodata,"a",@progbits
	.p2align	6, 0x0
	.amdhsa_kernel _Z23matrix_transpose_kernelPfPKfj
		.amdhsa_group_segment_fixed_size 0
		.amdhsa_private_segment_fixed_size 0
		.amdhsa_kernarg_size 20
		.amdhsa_user_sgpr_count 2
		.amdhsa_user_sgpr_dispatch_ptr 0
		.amdhsa_user_sgpr_queue_ptr 0
		.amdhsa_user_sgpr_kernarg_segment_ptr 1
		.amdhsa_user_sgpr_dispatch_id 0
		.amdhsa_user_sgpr_kernarg_preload_length 0
		.amdhsa_user_sgpr_kernarg_preload_offset 0
		.amdhsa_user_sgpr_private_segment_size 0
		.amdhsa_wavefront_size32 1
		.amdhsa_uses_dynamic_stack 0
		.amdhsa_enable_private_segment 0
		.amdhsa_system_sgpr_workgroup_id_x 1
		.amdhsa_system_sgpr_workgroup_id_y 0
		.amdhsa_system_sgpr_workgroup_id_z 0
		.amdhsa_system_sgpr_workgroup_info 0
		.amdhsa_system_vgpr_workitem_id 1
		.amdhsa_next_free_vgpr 4
		.amdhsa_next_free_sgpr 8
		.amdhsa_named_barrier_count 0
		.amdhsa_reserve_vcc 0
		.amdhsa_float_round_mode_32 0
		.amdhsa_float_round_mode_16_64 0
		.amdhsa_float_denorm_mode_32 3
		.amdhsa_float_denorm_mode_16_64 3
		.amdhsa_fp16_overflow 0
		.amdhsa_memory_ordered 1
		.amdhsa_forward_progress 1
		.amdhsa_inst_pref_size 2
		.amdhsa_round_robin_scheduling 0
		.amdhsa_exception_fp_ieee_invalid_op 0
		.amdhsa_exception_fp_denorm_src 0
		.amdhsa_exception_fp_ieee_div_zero 0
		.amdhsa_exception_fp_ieee_overflow 0
		.amdhsa_exception_fp_ieee_underflow 0
		.amdhsa_exception_fp_ieee_inexact 0
		.amdhsa_exception_int_div_zero 0
	.end_amdhsa_kernel
	.text
.Lfunc_end0:
	.size	_Z23matrix_transpose_kernelPfPKfj, .Lfunc_end0-_Z23matrix_transpose_kernelPfPKfj
                                        ; -- End function
	.set _Z23matrix_transpose_kernelPfPKfj.num_vgpr, 4
	.set _Z23matrix_transpose_kernelPfPKfj.num_agpr, 0
	.set _Z23matrix_transpose_kernelPfPKfj.numbered_sgpr, 8
	.set _Z23matrix_transpose_kernelPfPKfj.num_named_barrier, 0
	.set _Z23matrix_transpose_kernelPfPKfj.private_seg_size, 0
	.set _Z23matrix_transpose_kernelPfPKfj.uses_vcc, 0
	.set _Z23matrix_transpose_kernelPfPKfj.uses_flat_scratch, 0
	.set _Z23matrix_transpose_kernelPfPKfj.has_dyn_sized_stack, 0
	.set _Z23matrix_transpose_kernelPfPKfj.has_recursion, 0
	.set _Z23matrix_transpose_kernelPfPKfj.has_indirect_call, 0
	.section	.AMDGPU.csdata,"",@progbits
; Kernel info:
; codeLenInByte = 140
; TotalNumSgprs: 8
; NumVgprs: 4
; ScratchSize: 0
; MemoryBound: 0
; FloatMode: 240
; IeeeMode: 1
; LDSByteSize: 0 bytes/workgroup (compile time only)
; SGPRBlocks: 0
; VGPRBlocks: 0
; NumSGPRsForWavesPerEU: 8
; NumVGPRsForWavesPerEU: 4
; NamedBarCnt: 0
; Occupancy: 16
; WaveLimiterHint : 0
; COMPUTE_PGM_RSRC2:SCRATCH_EN: 0
; COMPUTE_PGM_RSRC2:USER_SGPR: 2
; COMPUTE_PGM_RSRC2:TRAP_HANDLER: 0
; COMPUTE_PGM_RSRC2:TGID_X_EN: 1
; COMPUTE_PGM_RSRC2:TGID_Y_EN: 0
; COMPUTE_PGM_RSRC2:TGID_Z_EN: 0
; COMPUTE_PGM_RSRC2:TIDIG_COMP_CNT: 1
	.text
	.p2alignl 7, 3214868480
	.fill 96, 4, 3214868480
	.section	.AMDGPU.gpr_maximums,"",@progbits
	.set amdgpu.max_num_vgpr, 0
	.set amdgpu.max_num_agpr, 0
	.set amdgpu.max_num_sgpr, 0
	.text
	.type	__hip_cuid_23eca3174e0c0a9f,@object ; @__hip_cuid_23eca3174e0c0a9f
	.section	.bss,"aw",@nobits
	.globl	__hip_cuid_23eca3174e0c0a9f
__hip_cuid_23eca3174e0c0a9f:
	.byte	0                               ; 0x0
	.size	__hip_cuid_23eca3174e0c0a9f, 1

	.ident	"AMD clang version 22.0.0git (https://github.com/RadeonOpenCompute/llvm-project roc-7.2.4 26084 f58b06dce1f9c15707c5f808fd002e18c2accf7e)"
	.section	".note.GNU-stack","",@progbits
	.addrsig
	.addrsig_sym __hip_cuid_23eca3174e0c0a9f
	.amdgpu_metadata
---
amdhsa.kernels:
  - .args:
      - .address_space:  global
        .offset:         0
        .size:           8
        .value_kind:     global_buffer
      - .address_space:  global
        .offset:         8
        .size:           8
        .value_kind:     global_buffer
      - .offset:         16
        .size:           4
        .value_kind:     by_value
    .group_segment_fixed_size: 0
    .kernarg_segment_align: 8
    .kernarg_segment_size: 20
    .language:       OpenCL C
    .language_version:
      - 2
      - 0
    .max_flat_workgroup_size: 1024
    .name:           _Z23matrix_transpose_kernelPfPKfj
    .private_segment_fixed_size: 0
    .sgpr_count:     8
    .sgpr_spill_count: 0
    .symbol:         _Z23matrix_transpose_kernelPfPKfj.kd
    .uniform_work_group_size: 1
    .uses_dynamic_stack: false
    .vgpr_count:     4
    .vgpr_spill_count: 0
    .wavefront_size: 32
amdhsa.target:   amdgcn-amd-amdhsa--gfx1250
amdhsa.version:
  - 1
  - 2
...

	.end_amdgpu_metadata
